;; amdgpu-corpus repo=ROCm/rocFFT kind=compiled arch=gfx950 opt=O3
	.text
	.amdgcn_target "amdgcn-amd-amdhsa--gfx950"
	.amdhsa_code_object_version 6
	.protected	fft_rtc_fwd_len1344_factors_2_2_2_2_2_2_3_7_wgs_224_tpt_224_halfLds_half_op_CI_CI_unitstride_sbrr_R2C_dirReg ; -- Begin function fft_rtc_fwd_len1344_factors_2_2_2_2_2_2_3_7_wgs_224_tpt_224_halfLds_half_op_CI_CI_unitstride_sbrr_R2C_dirReg
	.globl	fft_rtc_fwd_len1344_factors_2_2_2_2_2_2_3_7_wgs_224_tpt_224_halfLds_half_op_CI_CI_unitstride_sbrr_R2C_dirReg
	.p2align	8
	.type	fft_rtc_fwd_len1344_factors_2_2_2_2_2_2_3_7_wgs_224_tpt_224_halfLds_half_op_CI_CI_unitstride_sbrr_R2C_dirReg,@function
fft_rtc_fwd_len1344_factors_2_2_2_2_2_2_3_7_wgs_224_tpt_224_halfLds_half_op_CI_CI_unitstride_sbrr_R2C_dirReg: ; @fft_rtc_fwd_len1344_factors_2_2_2_2_2_2_3_7_wgs_224_tpt_224_halfLds_half_op_CI_CI_unitstride_sbrr_R2C_dirReg
; %bb.0:
	s_load_dwordx4 s[4:7], s[0:1], 0x58
	s_load_dwordx4 s[8:11], s[0:1], 0x0
	;; [unrolled: 1-line block ×3, first 2 shown]
	v_mul_u32_u24_e32 v1, 0x125, v0
	v_add_u32_sdwa v8, s2, v1 dst_sel:DWORD dst_unused:UNUSED_PAD src0_sel:DWORD src1_sel:WORD_1
	v_mov_b32_e32 v6, 0
	s_waitcnt lgkmcnt(0)
	v_cmp_lt_u64_e64 s[2:3], s[10:11], 2
	v_mov_b32_e32 v9, v6
	s_and_b64 vcc, exec, s[2:3]
	v_mov_b64_e32 v[12:13], 0
	s_cbranch_vccnz .LBB0_8
; %bb.1:
	s_load_dwordx2 s[2:3], s[0:1], 0x10
	s_add_u32 s16, s14, 8
	s_addc_u32 s17, s15, 0
	s_add_u32 s18, s12, 8
	s_addc_u32 s19, s13, 0
	s_waitcnt lgkmcnt(0)
	s_add_u32 s20, s2, 8
	v_mov_b64_e32 v[12:13], 0
	s_addc_u32 s21, s3, 0
	s_mov_b64 s[22:23], 1
	v_mov_b64_e32 v[2:3], v[12:13]
.LBB0_2:                                ; =>This Inner Loop Header: Depth=1
	s_load_dwordx2 s[24:25], s[20:21], 0x0
                                        ; implicit-def: $vgpr4_vgpr5
	s_waitcnt lgkmcnt(0)
	v_or_b32_e32 v7, s25, v9
	v_cmp_ne_u64_e32 vcc, 0, v[6:7]
	s_and_saveexec_b64 s[2:3], vcc
	s_xor_b64 s[26:27], exec, s[2:3]
	s_cbranch_execz .LBB0_4
; %bb.3:                                ;   in Loop: Header=BB0_2 Depth=1
	v_cvt_f32_u32_e32 v1, s24
	v_cvt_f32_u32_e32 v4, s25
	s_sub_u32 s2, 0, s24
	s_subb_u32 s3, 0, s25
	v_fmac_f32_e32 v1, 0x4f800000, v4
	v_rcp_f32_e32 v1, v1
	s_nop 0
	v_mul_f32_e32 v1, 0x5f7ffffc, v1
	v_mul_f32_e32 v4, 0x2f800000, v1
	v_trunc_f32_e32 v4, v4
	v_fmac_f32_e32 v1, 0xcf800000, v4
	v_cvt_u32_f32_e32 v7, v4
	v_cvt_u32_f32_e32 v1, v1
	v_mul_lo_u32 v4, s2, v7
	v_mul_hi_u32 v10, s2, v1
	v_mul_lo_u32 v5, s3, v1
	v_add_u32_e32 v10, v10, v4
	v_mul_lo_u32 v14, s2, v1
	v_add_u32_e32 v15, v10, v5
	v_mul_hi_u32 v4, v1, v14
	v_mul_hi_u32 v11, v1, v15
	v_mul_lo_u32 v10, v1, v15
	v_mov_b32_e32 v5, v6
	v_lshl_add_u64 v[4:5], v[4:5], 0, v[10:11]
	v_mul_hi_u32 v11, v7, v14
	v_mul_lo_u32 v14, v7, v14
	v_add_co_u32_e32 v4, vcc, v4, v14
	v_mul_hi_u32 v10, v7, v15
	s_nop 0
	v_addc_co_u32_e32 v4, vcc, v5, v11, vcc
	v_mov_b32_e32 v5, v6
	s_nop 0
	v_addc_co_u32_e32 v11, vcc, 0, v10, vcc
	v_mul_lo_u32 v10, v7, v15
	v_lshl_add_u64 v[4:5], v[4:5], 0, v[10:11]
	v_add_co_u32_e32 v1, vcc, v1, v4
	v_mul_lo_u32 v10, s2, v1
	s_nop 0
	v_addc_co_u32_e32 v7, vcc, v7, v5, vcc
	v_mul_lo_u32 v4, s2, v7
	v_mul_hi_u32 v5, s2, v1
	v_add_u32_e32 v4, v5, v4
	v_mul_lo_u32 v5, s3, v1
	v_add_u32_e32 v14, v4, v5
	v_mul_hi_u32 v16, v7, v10
	v_mul_lo_u32 v17, v7, v10
	v_mul_hi_u32 v5, v1, v14
	v_mul_lo_u32 v4, v1, v14
	v_mul_hi_u32 v10, v1, v10
	v_mov_b32_e32 v11, v6
	v_lshl_add_u64 v[4:5], v[10:11], 0, v[4:5]
	v_add_co_u32_e32 v4, vcc, v4, v17
	v_mul_hi_u32 v15, v7, v14
	s_nop 0
	v_addc_co_u32_e32 v4, vcc, v5, v16, vcc
	v_mul_lo_u32 v10, v7, v14
	s_nop 0
	v_addc_co_u32_e32 v11, vcc, 0, v15, vcc
	v_mov_b32_e32 v5, v6
	v_lshl_add_u64 v[4:5], v[4:5], 0, v[10:11]
	v_add_co_u32_e32 v1, vcc, v1, v4
	v_mul_hi_u32 v10, v8, v1
	s_nop 0
	v_addc_co_u32_e32 v7, vcc, v7, v5, vcc
	v_mad_u64_u32 v[4:5], s[2:3], v8, v7, 0
	v_mov_b32_e32 v11, v6
	v_lshl_add_u64 v[4:5], v[10:11], 0, v[4:5]
	v_mad_u64_u32 v[14:15], s[2:3], v9, v1, 0
	v_add_co_u32_e32 v1, vcc, v4, v14
	v_mad_u64_u32 v[10:11], s[2:3], v9, v7, 0
	s_nop 0
	v_addc_co_u32_e32 v4, vcc, v5, v15, vcc
	v_mov_b32_e32 v5, v6
	s_nop 0
	v_addc_co_u32_e32 v11, vcc, 0, v11, vcc
	v_lshl_add_u64 v[4:5], v[4:5], 0, v[10:11]
	v_mul_lo_u32 v1, s25, v4
	v_mul_lo_u32 v7, s24, v5
	v_mad_u64_u32 v[10:11], s[2:3], s24, v4, 0
	v_add3_u32 v1, v11, v7, v1
	v_sub_u32_e32 v7, v9, v1
	v_mov_b32_e32 v11, s25
	v_sub_co_u32_e32 v16, vcc, v8, v10
	v_lshl_add_u64 v[14:15], v[4:5], 0, 1
	s_nop 0
	v_subb_co_u32_e64 v7, s[2:3], v7, v11, vcc
	v_subrev_co_u32_e64 v10, s[2:3], s24, v16
	v_subb_co_u32_e32 v1, vcc, v9, v1, vcc
	s_nop 0
	v_subbrev_co_u32_e64 v7, s[2:3], 0, v7, s[2:3]
	v_cmp_le_u32_e64 s[2:3], s25, v7
	v_cmp_le_u32_e32 vcc, s25, v1
	s_nop 0
	v_cndmask_b32_e64 v11, 0, -1, s[2:3]
	v_cmp_le_u32_e64 s[2:3], s24, v10
	s_nop 1
	v_cndmask_b32_e64 v10, 0, -1, s[2:3]
	v_cmp_eq_u32_e64 s[2:3], s25, v7
	s_nop 1
	v_cndmask_b32_e64 v7, v11, v10, s[2:3]
	v_lshl_add_u64 v[10:11], v[4:5], 0, 2
	v_cmp_ne_u32_e64 s[2:3], 0, v7
	s_nop 1
	v_cndmask_b32_e64 v7, v15, v11, s[2:3]
	v_cndmask_b32_e64 v11, 0, -1, vcc
	v_cmp_le_u32_e32 vcc, s24, v16
	s_nop 1
	v_cndmask_b32_e64 v15, 0, -1, vcc
	v_cmp_eq_u32_e32 vcc, s25, v1
	s_nop 1
	v_cndmask_b32_e32 v1, v11, v15, vcc
	v_cmp_ne_u32_e32 vcc, 0, v1
	v_cndmask_b32_e64 v1, v14, v10, s[2:3]
	s_nop 0
	v_cndmask_b32_e32 v5, v5, v7, vcc
	v_cndmask_b32_e32 v4, v4, v1, vcc
.LBB0_4:                                ;   in Loop: Header=BB0_2 Depth=1
	s_andn2_saveexec_b64 s[2:3], s[26:27]
	s_cbranch_execz .LBB0_6
; %bb.5:                                ;   in Loop: Header=BB0_2 Depth=1
	v_cvt_f32_u32_e32 v1, s24
	s_sub_i32 s26, 0, s24
	v_rcp_iflag_f32_e32 v1, v1
	s_nop 0
	v_mul_f32_e32 v1, 0x4f7ffffe, v1
	v_cvt_u32_f32_e32 v1, v1
	v_mul_lo_u32 v4, s26, v1
	v_mul_hi_u32 v4, v1, v4
	v_add_u32_e32 v1, v1, v4
	v_mul_hi_u32 v1, v8, v1
	v_mul_lo_u32 v4, v1, s24
	v_sub_u32_e32 v4, v8, v4
	v_add_u32_e32 v5, 1, v1
	v_subrev_u32_e32 v7, s24, v4
	v_cmp_le_u32_e32 vcc, s24, v4
	s_nop 1
	v_cndmask_b32_e32 v4, v4, v7, vcc
	v_cndmask_b32_e32 v1, v1, v5, vcc
	v_add_u32_e32 v5, 1, v1
	v_cmp_le_u32_e32 vcc, s24, v4
	s_nop 1
	v_cndmask_b32_e32 v4, v1, v5, vcc
	v_mov_b32_e32 v5, v6
.LBB0_6:                                ;   in Loop: Header=BB0_2 Depth=1
	s_or_b64 exec, exec, s[2:3]
	v_mad_u64_u32 v[10:11], s[2:3], v4, s24, 0
	s_load_dwordx2 s[2:3], s[18:19], 0x0
	v_mul_lo_u32 v1, v5, s24
	v_mul_lo_u32 v7, v4, s25
	s_load_dwordx2 s[24:25], s[16:17], 0x0
	s_add_u32 s22, s22, 1
	v_add3_u32 v1, v11, v7, v1
	v_sub_co_u32_e32 v7, vcc, v8, v10
	s_addc_u32 s23, s23, 0
	s_nop 0
	v_subb_co_u32_e32 v1, vcc, v9, v1, vcc
	s_add_u32 s16, s16, 8
	s_waitcnt lgkmcnt(0)
	v_mul_lo_u32 v8, s2, v1
	v_mul_lo_u32 v9, s3, v7
	v_mad_u64_u32 v[12:13], s[2:3], s2, v7, v[12:13]
	s_addc_u32 s17, s17, 0
	v_add3_u32 v13, v9, v13, v8
	v_mul_lo_u32 v1, s24, v1
	v_mul_lo_u32 v8, s25, v7
	v_mad_u64_u32 v[2:3], s[2:3], s24, v7, v[2:3]
	s_add_u32 s18, s18, 8
	v_add3_u32 v3, v8, v3, v1
	s_addc_u32 s19, s19, 0
	v_mov_b64_e32 v[8:9], s[10:11]
	s_add_u32 s20, s20, 8
	v_cmp_ge_u64_e32 vcc, s[22:23], v[8:9]
	s_addc_u32 s21, s21, 0
	s_cbranch_vccnz .LBB0_9
; %bb.7:                                ;   in Loop: Header=BB0_2 Depth=1
	v_mov_b64_e32 v[8:9], v[4:5]
	s_branch .LBB0_2
.LBB0_8:
	v_mov_b64_e32 v[2:3], v[12:13]
	v_mov_b64_e32 v[4:5], v[8:9]
.LBB0_9:
	s_load_dwordx2 s[18:19], s[0:1], 0x28
	s_lshl_b64 s[16:17], s[10:11], 3
	s_add_u32 s2, s14, s16
	s_addc_u32 s3, s15, s17
                                        ; implicit-def: $vgpr6
                                        ; implicit-def: $vgpr8
                                        ; implicit-def: $vgpr10
	s_waitcnt lgkmcnt(0)
	v_cmp_gt_u64_e64 s[0:1], s[18:19], v[4:5]
	v_cmp_le_u64_e32 vcc, s[18:19], v[4:5]
	s_and_saveexec_b64 s[10:11], vcc
	s_xor_b64 s[10:11], exec, s[10:11]
; %bb.10:
	s_mov_b32 s14, 0x124924a
	v_mul_hi_u32 v1, v0, s14
	v_mul_u32_u24_e32 v1, 0xe0, v1
	v_sub_u32_e32 v6, v0, v1
	v_add_u32_e32 v8, 0xe0, v6
	v_add_u32_e32 v10, 0x1c0, v6
                                        ; implicit-def: $vgpr0
                                        ; implicit-def: $vgpr12_vgpr13
; %bb.11:
	s_andn2_saveexec_b64 s[10:11], s[10:11]
	s_cbranch_execz .LBB0_13
; %bb.12:
	s_add_u32 s12, s12, s16
	s_addc_u32 s13, s13, s17
	s_load_dwordx2 s[12:13], s[12:13], 0x0
	s_mov_b32 s14, 0x124924a
	s_waitcnt lgkmcnt(0)
	v_mul_lo_u32 v1, s13, v4
	v_mul_lo_u32 v6, s12, v5
	v_mad_u64_u32 v[8:9], s[12:13], s12, v4, 0
	v_add3_u32 v9, v9, v6, v1
	v_mul_hi_u32 v1, v0, s14
	v_mul_u32_u24_e32 v1, 0xe0, v1
	v_sub_u32_e32 v6, v0, v1
	v_lshl_add_u64 v[0:1], v[8:9], 2, s[4:5]
	v_lshl_add_u64 v[0:1], v[12:13], 2, v[0:1]
	v_lshlrev_b32_e32 v12, 2, v6
	v_mov_b32_e32 v13, 0
	v_lshl_add_u64 v[0:1], v[0:1], 0, v[12:13]
	v_add_co_u32_e32 v8, vcc, 0x1000, v0
	v_add_u32_e32 v10, 0x1c0, v6
	s_nop 0
	v_addc_co_u32_e32 v9, vcc, 0, v1, vcc
	global_load_dword v7, v[0:1], off
	global_load_dword v11, v[0:1], off offset:896
	global_load_dword v13, v[0:1], off offset:1792
	;; [unrolled: 1-line block ×5, first 2 shown]
	v_add_u32_e32 v0, 0, v12
	v_add_u32_e32 v8, 0xe0, v6
	;; [unrolled: 1-line block ×3, first 2 shown]
	s_waitcnt vmcnt(4)
	ds_write2_b32 v0, v7, v11 offset1:224
	s_waitcnt vmcnt(2)
	ds_write2_b32 v1, v13, v14 offset1:224
	v_add_u32_e32 v0, 0xe00, v0
	s_waitcnt vmcnt(0)
	ds_write2_b32 v0, v15, v16 offset1:224
.LBB0_13:
	s_or_b64 exec, exec, s[10:11]
	v_lshlrev_b32_e32 v7, 2, v6
	v_add_u32_e32 v16, 0, v7
	v_add_u32_e32 v0, 0x700, v16
	;; [unrolled: 1-line block ×3, first 2 shown]
	s_load_dwordx2 s[2:3], s[2:3], 0x0
	s_waitcnt lgkmcnt(0)
	s_barrier
	ds_read2_b32 v[0:1], v0 offset1:224
	ds_read2_b32 v[12:13], v9 offset1:224
	;; [unrolled: 1-line block ×3, first 2 shown]
	v_add_u32_e32 v9, v16, v7
	v_lshl_add_u32 v18, v8, 3, 0
	v_lshl_add_u32 v17, v10, 3, 0
	s_waitcnt lgkmcnt(1)
	v_pk_add_f16 v11, v0, v13 neg_lo:[0,1] neg_hi:[0,1]
	s_waitcnt lgkmcnt(0)
	v_pk_add_f16 v1, v14, v1 neg_lo:[0,1] neg_hi:[0,1]
	v_pk_fma_f16 v0, v0, 2.0, v11 op_sel_hi:[1,0,1] neg_lo:[0,0,1] neg_hi:[0,0,1]
	v_pk_add_f16 v12, v15, v12 neg_lo:[0,1] neg_hi:[0,1]
	v_pk_fma_f16 v14, v14, 2.0, v1 op_sel_hi:[1,0,1] neg_lo:[0,0,1] neg_hi:[0,0,1]
	v_pk_fma_f16 v13, v15, 2.0, v12 op_sel_hi:[1,0,1] neg_lo:[0,0,1] neg_hi:[0,0,1]
	s_barrier
	ds_write2_b32 v9, v14, v1 offset1:1
	ds_write2_b32 v18, v13, v12 offset1:1
	;; [unrolled: 1-line block ×3, first 2 shown]
	v_and_b32_e32 v0, 1, v6
	v_lshlrev_b32_e32 v1, 2, v0
	s_waitcnt lgkmcnt(0)
	s_barrier
	global_load_dword v12, v1, s[8:9]
	v_lshlrev_b32_e32 v13, 1, v6
	v_lshlrev_b32_e32 v14, 1, v8
	;; [unrolled: 1-line block ×3, first 2 shown]
	s_movk_i32 s5, 0x1fc
	s_movk_i32 s10, 0x3fc
	;; [unrolled: 1-line block ×3, first 2 shown]
	v_lshlrev_b32_e32 v11, 2, v8
	v_lshlrev_b32_e32 v9, 2, v10
	v_and_or_b32 v1, v13, s5, v0
	v_and_or_b32 v22, v14, s10, v0
	;; [unrolled: 1-line block ×3, first 2 shown]
	v_sub_u32_e32 v20, v18, v11
	v_sub_u32_e32 v21, v17, v9
	v_add_u32_e32 v24, 0xa80, v16
	v_lshl_add_u32 v25, v1, 2, 0
	v_lshl_add_u32 v26, v0, 2, 0
	ds_read_b32 v27, v16
	ds_read_u16 v28, v20 offset:2
	ds_read_b32 v29, v21
	ds_read_b32 v30, v20
	ds_read_b32 v31, v16 offset:4480
	ds_read2_b32 v[0:1], v24 offset1:224
	s_mov_b32 s4, 0xffff
	v_and_b32_e32 v19, 3, v6
	s_waitcnt lgkmcnt(0)
	s_barrier
	v_lshlrev_b32_e32 v23, 2, v19
	v_lshl_add_u32 v22, v22, 2, 0
	s_movk_i32 s5, 0x1f8
	s_movk_i32 s10, 0x3f8
	;; [unrolled: 1-line block ×4, first 2 shown]
	s_mov_b32 s12, 0xbaee
	v_cmp_gt_u32_e32 vcc, s13, v6
	s_waitcnt vmcnt(0)
	v_pk_mul_f16 v32, v12, v31 op_sel:[0,1]
	v_pk_mul_f16 v33, v12, v0 op_sel:[0,1]
	;; [unrolled: 1-line block ×3, first 2 shown]
	v_pk_fma_f16 v35, v12, v31, v32 op_sel:[0,0,1] op_sel_hi:[1,1,0] neg_lo:[0,0,1] neg_hi:[0,0,1]
	v_pk_fma_f16 v31, v12, v31, v32 op_sel:[0,0,1] op_sel_hi:[1,0,0]
	v_pk_fma_f16 v32, v12, v0, v33 op_sel:[0,0,1] op_sel_hi:[1,1,0] neg_lo:[0,0,1] neg_hi:[0,0,1]
	v_pk_fma_f16 v0, v12, v0, v33 op_sel:[0,0,1] op_sel_hi:[1,0,0]
	;; [unrolled: 2-line block ×3, first 2 shown]
	v_bfi_b32 v0, s4, v32, v0
	v_bfi_b32 v1, s4, v33, v1
	v_pk_add_f16 v0, v27, v0 neg_lo:[0,1] neg_hi:[0,1]
	v_pk_add_f16 v1, v30, v1 neg_lo:[0,1] neg_hi:[0,1]
	v_bfi_b32 v12, s4, v35, v31
	v_pk_fma_f16 v27, v27, 2.0, v0 op_sel_hi:[1,0,1] neg_lo:[0,0,1] neg_hi:[0,0,1]
	v_lshrrev_b32_e32 v31, 16, v1
	v_fma_f16 v30, v30, 2.0, -v1
	ds_write2_b32 v25, v27, v0 offset1:2
	v_fma_f16 v0, v28, 2.0, -v31
	v_pk_add_f16 v12, v29, v12 neg_lo:[0,1] neg_hi:[0,1]
	v_pack_b32_f16 v0, v30, v0
	v_pk_fma_f16 v29, v29, 2.0, v12 op_sel_hi:[1,0,1] neg_lo:[0,0,1] neg_hi:[0,0,1]
	ds_write2_b32 v22, v0, v1 offset1:2
	ds_write2_b32 v26, v29, v12 offset1:2
	s_waitcnt lgkmcnt(0)
	s_barrier
	global_load_dword v12, v23, s[8:9] offset:8
	v_and_or_b32 v0, v13, s5, v19
	v_and_or_b32 v1, v14, s10, v19
	v_lshl_add_u32 v25, v0, 2, 0
	v_lshl_add_u32 v26, v1, 2, 0
	ds_read_b32 v27, v16
	ds_read_b32 v28, v21
	ds_read_b32 v29, v20
	ds_read_b32 v30, v16 offset:4480
	ds_read2_b32 v[0:1], v24 offset1:224
	v_and_b32_e32 v22, 7, v6
	v_and_or_b32 v19, v15, s11, v19
	v_lshlrev_b32_e32 v23, 2, v22
	v_lshl_add_u32 v19, v19, 2, 0
	s_waitcnt lgkmcnt(0)
	s_barrier
	s_movk_i32 s5, 0x1f0
	s_movk_i32 s10, 0x3f0
	s_movk_i32 s11, 0x7f0
	s_waitcnt vmcnt(0)
	v_pk_mul_f16 v31, v12, v30 op_sel:[0,1]
	v_pk_mul_f16 v32, v12, v0 op_sel:[0,1]
	v_pk_mul_f16 v33, v12, v1 op_sel:[0,1]
	v_pk_fma_f16 v34, v12, v30, v31 op_sel:[0,0,1] op_sel_hi:[1,1,0] neg_lo:[0,0,1] neg_hi:[0,0,1]
	v_pk_fma_f16 v30, v12, v30, v31 op_sel:[0,0,1] op_sel_hi:[1,0,0]
	v_pk_fma_f16 v31, v12, v0, v32 op_sel:[0,0,1] op_sel_hi:[1,1,0] neg_lo:[0,0,1] neg_hi:[0,0,1]
	v_pk_fma_f16 v0, v12, v0, v32 op_sel:[0,0,1] op_sel_hi:[1,0,0]
	v_pk_fma_f16 v32, v12, v1, v33 op_sel:[0,0,1] op_sel_hi:[1,1,0] neg_lo:[0,0,1] neg_hi:[0,0,1]
	v_pk_fma_f16 v1, v12, v1, v33 op_sel:[0,0,1] op_sel_hi:[1,0,0]
	v_bfi_b32 v0, s4, v31, v0
	v_bfi_b32 v12, s4, v34, v30
	v_bfi_b32 v1, s4, v32, v1
	v_pk_add_f16 v0, v27, v0 neg_lo:[0,1] neg_hi:[0,1]
	v_pk_add_f16 v12, v28, v12 neg_lo:[0,1] neg_hi:[0,1]
	v_pk_add_f16 v1, v29, v1 neg_lo:[0,1] neg_hi:[0,1]
	v_pk_fma_f16 v27, v27, 2.0, v0 op_sel_hi:[1,0,1] neg_lo:[0,0,1] neg_hi:[0,0,1]
	v_pk_fma_f16 v28, v28, 2.0, v12 op_sel_hi:[1,0,1] neg_lo:[0,0,1] neg_hi:[0,0,1]
	v_pk_fma_f16 v29, v29, 2.0, v1 op_sel_hi:[1,0,1] neg_lo:[0,0,1] neg_hi:[0,0,1]
	ds_write2_b32 v25, v27, v0 offset1:4
	ds_write2_b32 v26, v29, v1 offset1:4
	ds_write2_b32 v19, v28, v12 offset1:4
	s_waitcnt lgkmcnt(0)
	s_barrier
	global_load_dword v12, v23, s[8:9] offset:24
	v_and_or_b32 v0, v13, s5, v22
	v_and_or_b32 v1, v14, s10, v22
	v_lshl_add_u32 v25, v0, 2, 0
	v_lshl_add_u32 v26, v1, 2, 0
	ds_read_b32 v27, v16
	ds_read_b32 v28, v21
	ds_read_b32 v29, v20
	ds_read_b32 v30, v16 offset:4480
	ds_read2_b32 v[0:1], v24 offset1:224
	v_and_b32_e32 v19, 15, v6
	v_and_or_b32 v22, v15, s11, v22
	v_lshlrev_b32_e32 v23, 2, v19
	v_lshl_add_u32 v22, v22, 2, 0
	s_waitcnt lgkmcnt(0)
	s_barrier
	s_movk_i32 s5, 0x1e0
	s_movk_i32 s10, 0x3e0
	s_movk_i32 s11, 0x7e0
	s_waitcnt vmcnt(0)
	v_pk_mul_f16 v31, v12, v30 op_sel:[0,1]
	v_pk_mul_f16 v32, v12, v0 op_sel:[0,1]
	v_pk_mul_f16 v33, v12, v1 op_sel:[0,1]
	v_pk_fma_f16 v34, v12, v30, v31 op_sel:[0,0,1] op_sel_hi:[1,1,0] neg_lo:[0,0,1] neg_hi:[0,0,1]
	v_pk_fma_f16 v30, v12, v30, v31 op_sel:[0,0,1] op_sel_hi:[1,0,0]
	v_pk_fma_f16 v31, v12, v0, v32 op_sel:[0,0,1] op_sel_hi:[1,1,0] neg_lo:[0,0,1] neg_hi:[0,0,1]
	v_pk_fma_f16 v0, v12, v0, v32 op_sel:[0,0,1] op_sel_hi:[1,0,0]
	v_pk_fma_f16 v32, v12, v1, v33 op_sel:[0,0,1] op_sel_hi:[1,1,0] neg_lo:[0,0,1] neg_hi:[0,0,1]
	v_pk_fma_f16 v1, v12, v1, v33 op_sel:[0,0,1] op_sel_hi:[1,0,0]
	v_bfi_b32 v0, s4, v31, v0
	v_bfi_b32 v12, s4, v34, v30
	v_bfi_b32 v1, s4, v32, v1
	v_pk_add_f16 v0, v27, v0 neg_lo:[0,1] neg_hi:[0,1]
	v_pk_add_f16 v12, v28, v12 neg_lo:[0,1] neg_hi:[0,1]
	v_pk_add_f16 v1, v29, v1 neg_lo:[0,1] neg_hi:[0,1]
	v_pk_fma_f16 v27, v27, 2.0, v0 op_sel_hi:[1,0,1] neg_lo:[0,0,1] neg_hi:[0,0,1]
	v_pk_fma_f16 v28, v28, 2.0, v12 op_sel_hi:[1,0,1] neg_lo:[0,0,1] neg_hi:[0,0,1]
	v_pk_fma_f16 v29, v29, 2.0, v1 op_sel_hi:[1,0,1] neg_lo:[0,0,1] neg_hi:[0,0,1]
	ds_write2_b32 v25, v27, v0 offset1:8
	;; [unrolled: 43-line block ×3, first 2 shown]
	ds_write2_b32 v26, v29, v1 offset1:16
	ds_write2_b32 v19, v28, v12 offset1:16
	s_waitcnt lgkmcnt(0)
	s_barrier
	global_load_dword v12, v23, s[8:9] offset:120
	v_and_or_b32 v0, v13, s5, v22
	v_and_or_b32 v1, v14, s10, v22
	v_and_or_b32 v13, v15, s11, v22
	v_lshl_add_u32 v15, v0, 2, 0
	v_lshl_add_u32 v22, v1, 2, 0
	ds_read_b32 v23, v16
	ds_read_b32 v25, v21
	;; [unrolled: 1-line block ×3, first 2 shown]
	ds_read_b32 v27, v16 offset:4480
	ds_read2_b32 v[0:1], v24 offset1:224
	v_and_b32_e32 v19, 63, v6
	v_lshlrev_b32_e32 v14, 3, v19
	v_lshl_add_u32 v13, v13, 2, 0
	s_waitcnt lgkmcnt(0)
	s_barrier
	s_mov_b32 s10, 0x7060302
	s_mov_b32 s5, 0x5040100
	s_movk_i32 s11, 0x3aee
	s_waitcnt vmcnt(0)
	v_pk_mul_f16 v28, v12, v27 op_sel:[0,1]
	v_pk_mul_f16 v29, v12, v0 op_sel:[0,1]
	;; [unrolled: 1-line block ×3, first 2 shown]
	v_pk_fma_f16 v31, v12, v27, v28 op_sel:[0,0,1] op_sel_hi:[1,1,0] neg_lo:[0,0,1] neg_hi:[0,0,1]
	v_pk_fma_f16 v27, v12, v27, v28 op_sel:[0,0,1] op_sel_hi:[1,0,0]
	v_pk_fma_f16 v28, v12, v0, v29 op_sel:[0,0,1] op_sel_hi:[1,1,0] neg_lo:[0,0,1] neg_hi:[0,0,1]
	v_pk_fma_f16 v0, v12, v0, v29 op_sel:[0,0,1] op_sel_hi:[1,0,0]
	;; [unrolled: 2-line block ×3, first 2 shown]
	v_bfi_b32 v0, s4, v28, v0
	v_bfi_b32 v12, s4, v31, v27
	;; [unrolled: 1-line block ×3, first 2 shown]
	v_pk_add_f16 v0, v23, v0 neg_lo:[0,1] neg_hi:[0,1]
	v_pk_add_f16 v12, v25, v12 neg_lo:[0,1] neg_hi:[0,1]
	;; [unrolled: 1-line block ×3, first 2 shown]
	v_pk_fma_f16 v23, v23, 2.0, v0 op_sel_hi:[1,0,1] neg_lo:[0,0,1] neg_hi:[0,0,1]
	v_pk_fma_f16 v25, v25, 2.0, v12 op_sel_hi:[1,0,1] neg_lo:[0,0,1] neg_hi:[0,0,1]
	;; [unrolled: 1-line block ×3, first 2 shown]
	ds_write2_b32 v15, v23, v0 offset1:32
	ds_write2_b32 v22, v26, v1 offset1:32
	ds_write2_b32 v13, v25, v12 offset1:32
	s_waitcnt lgkmcnt(0)
	s_barrier
	global_load_dwordx2 v[0:1], v14, s[8:9] offset:248
	v_and_b32_e32 v14, 63, v8
	v_lshlrev_b32_e32 v12, 3, v14
	global_load_dwordx2 v[12:13], v12, s[8:9] offset:248
	v_lshrrev_b32_e32 v15, 6, v6
	v_lshrrev_b32_e32 v22, 6, v8
	v_mul_u32_u24_e32 v15, 0xc0, v15
	v_mul_lo_u32 v22, v22, s13
	v_or_b32_e32 v15, v15, v19
	v_or_b32_e32 v14, v22, v14
	v_lshl_add_u32 v19, v15, 2, 0
	v_lshl_add_u32 v25, v14, 2, 0
	ds_read_b32 v22, v16
	ds_read2_b32 v[14:15], v24 offset1:224
	ds_read_b32 v21, v21
	ds_read_b32 v23, v20
	ds_read_b32 v20, v16 offset:4480
	s_waitcnt lgkmcnt(4)
	v_lshrrev_b32_e32 v32, 16, v22
	s_waitcnt lgkmcnt(3)
	v_lshrrev_b32_e32 v26, 16, v15
	s_waitcnt lgkmcnt(2)
	v_bfi_b32 v27, s4, v21, v15
	v_alignbit_b32 v15, v15, v21, 16
	v_lshrrev_b32_e32 v28, 16, v14
	s_waitcnt lgkmcnt(0)
	v_perm_b32 v30, v20, v14, s10
	v_perm_b32 v31, v20, v14, s5
	v_lshrrev_b32_e32 v29, 16, v20
	v_lshrrev_b32_e32 v24, 16, v23
	s_barrier
	s_waitcnt vmcnt(1)
	v_alignbit_b32 v33, v1, v0, 16
	v_lshrrev_b32_e32 v34, 16, v1
	v_bfi_b32 v1, s4, v0, v1
	s_waitcnt vmcnt(0)
	v_mul_f16_sdwa v14, v12, v14 dst_sel:DWORD dst_unused:UNUSED_PAD src0_sel:WORD_1 src1_sel:DWORD
	v_perm_b32 v36, v13, v12, s10
	v_perm_b32 v35, v13, v12, s5
	v_mul_f16_sdwa v20, v13, v20 dst_sel:DWORD dst_unused:UNUSED_PAD src0_sel:WORD_1 src1_sel:DWORD
	v_pk_mul_f16 v37, v33, v15
	v_fma_f16 v12, v12, v28, v14
	v_pk_mul_f16 v14, v36, v30
	v_pk_mul_f16 v1, v1, v15
	v_fma_f16 v13, v13, v29, v20
	v_lshrrev_b32_e32 v15, 16, v37
	v_pk_fma_f16 v14, v35, v31, v14 neg_lo:[0,0,1] neg_hi:[0,0,1]
	v_fma_f16 v0, v0, v21, -v37
	v_pk_fma_f16 v1, v33, v27, v1
	v_sub_f16_e32 v27, v12, v13
	v_add_f16_e32 v20, v24, v12
	v_add_f16_e32 v12, v12, v13
	v_fma_f16 v15, -v34, v26, v15
	v_add_f16_sdwa v29, v14, v14 dst_sel:DWORD dst_unused:UNUSED_PAD src0_sel:DWORD src1_sel:WORD_1
	v_add_f16_sdwa v28, v1, v1 dst_sel:DWORD dst_unused:UNUSED_PAD src0_sel:DWORD src1_sel:WORD_1
	v_add_f16_e32 v21, v23, v14
	v_fma_f16 v12, v12, -0.5, v24
	v_sub_f16_sdwa v24, v14, v14 dst_sel:DWORD dst_unused:UNUSED_PAD src0_sel:DWORD src1_sel:WORD_1
	v_pack_b32_f16 v30, v0, v1
	v_add_f16_e32 v31, v0, v15
	v_sub_f16_e32 v33, v0, v15
	v_fma_f16 v0, v29, -0.5, v23
	v_sub_f16_sdwa v26, v1, v1 dst_sel:DWORD dst_unused:UNUSED_PAD src0_sel:DWORD src1_sel:WORD_1
	v_add_f16_e32 v20, v20, v13
	v_add_f16_sdwa v13, v21, v14 dst_sel:DWORD dst_unused:UNUSED_PAD src0_sel:DWORD src1_sel:WORD_1
	v_fma_f16 v21, v24, s12, v12
	v_fma_f16 v23, v24, s11, v12
	v_pk_add_f16 v12, v30, v22
	v_bfi_b32 v1, s4, v15, v1
	v_fma_f16 v28, v28, -0.5, v32
	v_fma_f16 v14, v27, s11, v0
	v_fma_f16 v15, v27, s12, v0
	v_fma_f16 v27, v31, -0.5, v22
	v_pk_add_f16 v0, v12, v1
	v_fma_f16 v24, v33, s12, v28
	v_fma_f16 v1, v26, s11, v27
	;; [unrolled: 1-line block ×4, first 2 shown]
	v_pack_b32_f16 v29, v1, v24
	v_pack_b32_f16 v28, v13, v20
	;; [unrolled: 1-line block ×5, first 2 shown]
	ds_write2st64_b32 v19, v0, v29 offset1:1
	ds_write_b32 v19, v30 offset:512
	ds_write2st64_b32 v25, v28, v26 offset1:1
	ds_write_b32 v25, v27 offset:512
	v_lshrrev_b32_e32 v19, 16, v0
	s_waitcnt lgkmcnt(0)
	s_barrier
	s_waitcnt lgkmcnt(0)
                                        ; implicit-def: $vgpr25
	s_and_saveexec_b64 s[4:5], vcc
	s_cbranch_execz .LBB0_15
; %bb.14:
	ds_read2st64_b32 v[0:1], v16 offset1:3
	ds_read2st64_b32 v[12:13], v16 offset0:6 offset1:9
	ds_read2st64_b32 v[14:15], v16 offset0:12 offset1:15
	ds_read_b32 v25, v16 offset:4608
	s_waitcnt lgkmcnt(3)
	v_lshrrev_b32_e32 v19, 16, v0
	s_waitcnt lgkmcnt(2)
	v_lshrrev_b32_e32 v22, 16, v12
	v_lshrrev_b32_e32 v20, 16, v13
	s_waitcnt lgkmcnt(1)
	v_lshrrev_b32_e32 v21, 16, v14
	v_lshrrev_b32_e32 v23, 16, v15
	s_waitcnt lgkmcnt(0)
	v_perm_b32 v24, v25, v1, s10
.LBB0_15:
	s_or_b64 exec, exec, s[4:5]
	s_barrier
	s_and_saveexec_b64 s[4:5], vcc
	s_cbranch_execz .LBB0_17
; %bb.16:
	v_add_u32_e32 v26, 0xffffff40, v6
	v_cndmask_b32_e32 v26, v26, v6, vcc
	v_mul_i32_i24_e32 v26, 6, v26
	v_mov_b32_e32 v27, 0
	v_lshl_add_u64 v[30:31], v[26:27], 2, s[8:9]
	global_load_dwordx4 v[26:29], v[30:31], off offset:760
	global_load_dwordx2 v[32:33], v[30:31], off offset:776
	v_lshrrev_b32_e32 v30, 16, v24
	s_movk_i32 s10, 0x3574
	s_movk_i32 s12, 0x2b26
	s_mov_b32 s13, 0xbcab
	s_movk_i32 s14, 0x3b00
	s_mov_b32 s15, 0xb574
	s_mov_b32 s16, 0xb9e0
	s_movk_i32 s11, 0x370e
	s_waitcnt vmcnt(1)
	v_mul_f16_sdwa v31, v24, v26 dst_sel:DWORD dst_unused:UNUSED_PAD src0_sel:DWORD src1_sel:WORD_1
	s_waitcnt vmcnt(0)
	v_mul_f16_sdwa v34, v30, v33 dst_sel:DWORD dst_unused:UNUSED_PAD src0_sel:DWORD src1_sel:WORD_1
	v_mul_f16_sdwa v35, v21, v29 dst_sel:DWORD dst_unused:UNUSED_PAD src0_sel:DWORD src1_sel:WORD_1
	;; [unrolled: 1-line block ×11, first 2 shown]
	v_fma_f16 v1, v1, v26, -v31
	v_fma_f16 v25, v25, v33, -v34
	;; [unrolled: 1-line block ×6, first 2 shown]
	v_fma_f16 v30, v30, v33, v39
	v_fma_f16 v24, v24, v26, v40
	;; [unrolled: 1-line block ×6, first 2 shown]
	v_sub_f16_e32 v26, v1, v25
	v_sub_f16_e32 v27, v14, v13
	;; [unrolled: 1-line block ×3, first 2 shown]
	v_add_f16_e32 v29, v24, v30
	v_add_f16_e32 v31, v20, v21
	v_add_f16_e32 v32, v22, v23
	v_add_f16_e32 v1, v1, v25
	v_add_f16_e32 v13, v13, v14
	v_add_f16_e32 v12, v12, v15
	v_sub_f16_e32 v14, v24, v30
	v_sub_f16_e32 v15, v21, v20
	;; [unrolled: 1-line block ×5, first 2 shown]
	v_add_f16_e32 v23, v27, v28
	v_add_f16_e32 v27, v32, v29
	;; [unrolled: 1-line block ×3, first 2 shown]
	v_sub_f16_e32 v35, v14, v15
	v_sub_f16_e32 v36, v15, v20
	v_add_f16_e32 v15, v15, v20
	v_sub_f16_e32 v24, v29, v31
	v_sub_f16_e32 v25, v31, v32
	;; [unrolled: 1-line block ×6, first 2 shown]
	v_mul_f16_e32 v22, 0xb846, v22
	v_add_f16_e32 v27, v31, v27
	v_add_f16_e32 v13, v13, v34
	v_mul_f16_e32 v32, 0xb846, v36
	v_add_f16_e32 v15, v15, v14
	v_sub_f16_e32 v14, v20, v14
	v_mul_f16_e32 v24, 0x3a52, v24
	v_mul_f16_e32 v30, 0x3a52, v30
	;; [unrolled: 1-line block ×4, first 2 shown]
	v_fma_f16 v36, v21, s10, v22
	v_add_f16_e32 v19, v19, v27
	v_add_f16_e32 v0, v0, v13
	v_fma_f16 v37, v35, s10, v32
	v_sub_f16_e32 v1, v12, v1
	v_mul_f16_e32 v20, 0x3b00, v14
	s_movk_i32 s10, 0x39e0
	v_add_f16_e32 v23, v23, v26
	v_mul_f16_e32 v26, 0x2b26, v25
	v_fma_f16 v25, v25, s12, v24
	v_fma_f16 v33, v33, s12, v30
	v_fma_f16 v21, v21, s15, -v34
	v_fma_f16 v24, v29, s16, -v24
	v_fma_f16 v27, v27, s13, v19
	v_fma_f16 v13, v13, s13, v0
	v_fma_f16 v12, v1, s16, -v30
	v_fma_f16 v20, v35, s15, -v20
	;; [unrolled: 1-line block ×4, first 2 shown]
	v_fma_f16 v34, v23, s11, v36
	v_fma_f16 v36, v15, s11, v37
	;; [unrolled: 1-line block ×3, first 2 shown]
	v_add_f16_e32 v25, v25, v27
	v_add_f16_e32 v33, v33, v13
	;; [unrolled: 1-line block ×4, first 2 shown]
	v_fma_f16 v20, v15, s11, v20
	v_fma_f16 v26, v29, s10, -v26
	v_fma_f16 v22, v28, s14, -v22
	v_fma_f16 v14, v15, s11, v14
	v_add_f16_e32 v1, v1, v13
	v_add_f16_e32 v39, v21, v24
	v_sub_f16_e32 v30, v12, v20
	v_add_f16_e32 v26, v26, v27
	v_fma_f16 v22, v23, s11, v22
	v_add_f16_e32 v13, v14, v1
	v_sub_f16_e32 v1, v1, v14
	v_sub_f16_e32 v14, v24, v21
	v_add_f16_e32 v12, v20, v12
	v_sub_f16_e32 v20, v25, v34
	v_add_f16_e32 v21, v36, v33
	v_add_f16_e32 v15, v22, v26
	v_pack_b32_f16 v0, v0, v19
	v_pack_b32_f16 v19, v21, v20
	v_sub_f16_e32 v23, v26, v22
	ds_write2st64_b32 v16, v0, v19 offset1:3
	v_pack_b32_f16 v0, v12, v14
	v_pack_b32_f16 v1, v1, v15
	v_add_f16_e32 v37, v34, v25
	v_sub_f16_e32 v38, v33, v36
	ds_write2st64_b32 v16, v0, v1 offset0:6 offset1:9
	v_pack_b32_f16 v0, v13, v23
	v_pack_b32_f16 v1, v30, v39
	ds_write2st64_b32 v16, v0, v1 offset0:12 offset1:15
	v_pack_b32_f16 v0, v38, v37
	ds_write_b32 v16, v0 offset:4608
.LBB0_17:
	s_or_b64 exec, exec, s[4:5]
	s_waitcnt lgkmcnt(0)
	s_barrier
	ds_read_b32 v15, v16
	s_add_u32 s4, s8, 0x14f8
	s_addc_u32 s5, s9, 0
	v_sub_u32_e32 v0, 0, v7
	v_cmp_ne_u32_e32 vcc, 0, v6
                                        ; implicit-def: $vgpr12
                                        ; implicit-def: $vgpr1
                                        ; implicit-def: $vgpr7
	s_and_saveexec_b64 s[8:9], vcc
	s_xor_b64 s[8:9], exec, s[8:9]
	s_cbranch_execz .LBB0_19
; %bb.18:
	v_mov_b32_e32 v7, 0
	v_lshl_add_u64 v[12:13], v[6:7], 2, s[4:5]
	global_load_dword v1, v[12:13], off
	ds_read_b32 v7, v0 offset:5376
	s_mov_b32 s10, 0xffff
	s_waitcnt lgkmcnt(0)
	v_pk_add_f16 v12, v15, v7 neg_lo:[0,1] neg_hi:[0,1]
	v_pk_add_f16 v7, v7, v15
	s_nop 0
	v_bfi_b32 v13, s10, v12, v7
	v_bfi_b32 v7, s10, v7, v12
	v_pk_mul_f16 v12, v13, 0.5 op_sel_hi:[1,0]
	v_pk_mul_f16 v13, v7, 0.5 op_sel_hi:[1,0]
	s_waitcnt vmcnt(0)
	v_pk_mul_f16 v14, v1, v12 op_sel:[1,0]
	v_pk_mul_f16 v15, v1, v12 op_sel_hi:[0,1]
	v_pk_fma_f16 v1, v7, 0.5, v14 op_sel_hi:[1,0,1]
	v_sub_f16_e32 v7, v13, v14
	v_sub_f16_sdwa v13, v14, v13 dst_sel:DWORD dst_unused:UNUSED_PAD src0_sel:WORD_1 src1_sel:WORD_1
	v_pk_add_f16 v12, v1, v15 op_sel:[0,1] op_sel_hi:[1,0]
	v_pk_add_f16 v14, v1, v15 op_sel:[0,1] op_sel_hi:[1,0] neg_lo:[0,1] neg_hi:[0,1]
	v_sub_f16_sdwa v1, v7, v15 dst_sel:DWORD dst_unused:UNUSED_PAD src0_sel:DWORD src1_sel:WORD_1
	v_bfi_b32 v12, s10, v12, v14
	v_sub_f16_e32 v7, v13, v15
                                        ; implicit-def: $vgpr15
.LBB0_19:
	s_or_saveexec_b64 s[8:9], s[8:9]
	v_sub_u32_e32 v13, 0, v11
	v_sub_u32_e32 v14, 0, v9
	s_xor_b64 exec, exec, s[8:9]
	s_cbranch_execz .LBB0_21
; %bb.20:
	v_mov_b32_e32 v7, 0
	ds_read_u16 v9, v7 offset:2690
	s_waitcnt lgkmcnt(1)
	v_alignbit_b32 v11, s0, v15, 16
	v_pk_add_f16 v11, v11, v15
	v_sub_f16_sdwa v1, v15, v15 dst_sel:DWORD dst_unused:UNUSED_PAD src0_sel:DWORD src1_sel:WORD_1
	v_pack_b32_f16 v12, v11, 0
	s_waitcnt lgkmcnt(0)
	v_xor_b32_e32 v9, 0x8000, v9
	ds_write_b16 v7, v9 offset:2690
.LBB0_21:
	s_or_b64 exec, exec, s[8:9]
	v_mov_b32_e32 v9, 0
	v_lshl_add_u64 v[20:21], v[8:9], 2, s[4:5]
	global_load_dword v8, v[20:21], off
	v_mov_b32_e32 v11, v9
	v_lshl_add_u64 v[10:11], v[10:11], 2, s[4:5]
	global_load_dword v10, v[10:11], off
	ds_write_b16 v0, v7 offset:5378
	ds_write_b32 v16, v12
	ds_write_b16 v0, v1 offset:5376
	v_add_u32_e32 v1, v18, v13
	ds_read_b32 v7, v1
	ds_read_b32 v11, v0 offset:4480
	s_mov_b32 s4, 0xffff
	v_add_u32_e32 v12, v17, v14
	s_waitcnt lgkmcnt(0)
	v_pk_add_f16 v13, v7, v11 neg_lo:[0,1] neg_hi:[0,1]
	v_pk_add_f16 v7, v7, v11
	s_nop 0
	v_bfi_b32 v11, s4, v13, v7
	v_bfi_b32 v7, s4, v7, v13
	v_pk_mul_f16 v11, v11, 0.5 op_sel_hi:[1,0]
	v_pk_mul_f16 v7, v7, 0.5 op_sel_hi:[1,0]
	s_waitcnt vmcnt(1)
	v_pk_mul_f16 v14, v8, v11 op_sel_hi:[0,1]
	v_pk_fma_f16 v13, v8, v11, v7 op_sel:[1,0,0]
	v_pk_fma_f16 v15, v8, v11, v7 op_sel:[1,0,0] neg_lo:[1,0,0] neg_hi:[1,0,0]
	v_pk_fma_f16 v7, v8, v11, v7 op_sel:[1,0,0] neg_lo:[0,0,1] neg_hi:[0,0,1]
	v_pk_add_f16 v8, v13, v14 op_sel:[0,1] op_sel_hi:[1,0]
	v_pk_add_f16 v11, v13, v14 op_sel:[0,1] op_sel_hi:[1,0] neg_lo:[0,1] neg_hi:[0,1]
	v_pk_add_f16 v13, v15, v14 op_sel:[0,1] op_sel_hi:[1,0] neg_lo:[0,1] neg_hi:[0,1]
	;; [unrolled: 1-line block ×3, first 2 shown]
	v_bfi_b32 v8, s4, v8, v11
	v_bfi_b32 v7, s4, v13, v7
	ds_write_b32 v1, v8
	ds_write_b32 v0, v7 offset:4480
	ds_read_b32 v1, v12
	ds_read_b32 v7, v0 offset:3584
	s_waitcnt lgkmcnt(0)
	v_pk_add_f16 v8, v1, v7 neg_lo:[0,1] neg_hi:[0,1]
	v_pk_add_f16 v1, v1, v7
	s_nop 0
	v_bfi_b32 v7, s4, v8, v1
	v_bfi_b32 v1, s4, v1, v8
	v_pk_mul_f16 v7, v7, 0.5 op_sel_hi:[1,0]
	v_pk_mul_f16 v1, v1, 0.5 op_sel_hi:[1,0]
	s_waitcnt vmcnt(0)
	v_pk_mul_f16 v11, v10, v7 op_sel_hi:[0,1]
	v_pk_fma_f16 v8, v10, v7, v1 op_sel:[1,0,0]
	v_pk_fma_f16 v13, v10, v7, v1 op_sel:[1,0,0] neg_lo:[1,0,0] neg_hi:[1,0,0]
	v_pk_fma_f16 v1, v10, v7, v1 op_sel:[1,0,0] neg_lo:[0,0,1] neg_hi:[0,0,1]
	v_pk_add_f16 v7, v8, v11 op_sel:[0,1] op_sel_hi:[1,0]
	v_pk_add_f16 v8, v8, v11 op_sel:[0,1] op_sel_hi:[1,0] neg_lo:[0,1] neg_hi:[0,1]
	v_pk_add_f16 v10, v13, v11 op_sel:[0,1] op_sel_hi:[1,0] neg_lo:[0,1] neg_hi:[0,1]
	;; [unrolled: 1-line block ×3, first 2 shown]
	v_bfi_b32 v7, s4, v7, v8
	v_bfi_b32 v1, s4, v10, v1
	ds_write_b32 v12, v7
	ds_write_b32 v0, v1 offset:3584
	s_waitcnt lgkmcnt(0)
	s_barrier
	s_and_saveexec_b64 s[4:5], s[0:1]
	s_cbranch_execz .LBB0_24
; %bb.22:
	v_mul_lo_u32 v7, s3, v4
	v_mul_lo_u32 v5, s2, v5
	v_mad_u64_u32 v[0:1], s[0:1], s2, v4, 0
	v_lshl_add_u32 v12, v6, 2, 0
	v_add3_u32 v1, v1, v5, v7
	ds_read2_b32 v[4:5], v12 offset1:224
	v_lshl_add_u64 v[0:1], v[0:1], 2, s[6:7]
	v_mov_b32_e32 v7, v9
	v_lshl_add_u64 v[0:1], v[2:3], 2, v[0:1]
	v_lshl_add_u64 v[2:3], v[6:7], 2, v[0:1]
	s_waitcnt lgkmcnt(0)
	global_store_dword v[2:3], v4, off
	v_add_u32_e32 v2, 0x700, v12
	ds_read2_b32 v[2:3], v2 offset1:224
	v_add_u32_e32 v8, 0xe0, v6
	v_lshl_add_u64 v[10:11], v[8:9], 2, v[0:1]
	v_add_u32_e32 v8, 0x1c0, v6
	global_store_dword v[10:11], v5, off
	v_lshl_add_u64 v[4:5], v[8:9], 2, v[0:1]
	s_waitcnt lgkmcnt(0)
	global_store_dword v[4:5], v2, off
	v_add_u32_e32 v2, 0xe00, v12
	ds_read2_b32 v[4:5], v2 offset1:224
	v_add_u32_e32 v8, 0x2a0, v6
	v_lshl_add_u64 v[10:11], v[8:9], 2, v[0:1]
	v_add_u32_e32 v8, 0x380, v6
	global_store_dword v[10:11], v3, off
	v_lshl_add_u64 v[2:3], v[8:9], 2, v[0:1]
	v_add_u32_e32 v8, 0x460, v6
	s_movk_i32 s0, 0xdf
	s_waitcnt lgkmcnt(0)
	global_store_dword v[2:3], v4, off
	v_lshl_add_u64 v[2:3], v[8:9], 2, v[0:1]
	v_cmp_eq_u32_e32 vcc, s0, v6
	global_store_dword v[2:3], v5, off
	s_and_b64 exec, exec, vcc
	s_cbranch_execz .LBB0_24
; %bb.23:
	v_mov_b32_e32 v2, 0
	ds_read_b32 v2, v2 offset:5376
	v_add_co_u32_e32 v0, vcc, 0x1000, v0
	s_nop 1
	v_addc_co_u32_e32 v1, vcc, 0, v1, vcc
	s_waitcnt lgkmcnt(0)
	global_store_dword v[0:1], v2, off offset:1280
.LBB0_24:
	s_endpgm
	.section	.rodata,"a",@progbits
	.p2align	6, 0x0
	.amdhsa_kernel fft_rtc_fwd_len1344_factors_2_2_2_2_2_2_3_7_wgs_224_tpt_224_halfLds_half_op_CI_CI_unitstride_sbrr_R2C_dirReg
		.amdhsa_group_segment_fixed_size 0
		.amdhsa_private_segment_fixed_size 0
		.amdhsa_kernarg_size 104
		.amdhsa_user_sgpr_count 2
		.amdhsa_user_sgpr_dispatch_ptr 0
		.amdhsa_user_sgpr_queue_ptr 0
		.amdhsa_user_sgpr_kernarg_segment_ptr 1
		.amdhsa_user_sgpr_dispatch_id 0
		.amdhsa_user_sgpr_kernarg_preload_length 0
		.amdhsa_user_sgpr_kernarg_preload_offset 0
		.amdhsa_user_sgpr_private_segment_size 0
		.amdhsa_uses_dynamic_stack 0
		.amdhsa_enable_private_segment 0
		.amdhsa_system_sgpr_workgroup_id_x 1
		.amdhsa_system_sgpr_workgroup_id_y 0
		.amdhsa_system_sgpr_workgroup_id_z 0
		.amdhsa_system_sgpr_workgroup_info 0
		.amdhsa_system_vgpr_workitem_id 0
		.amdhsa_next_free_vgpr 45
		.amdhsa_next_free_sgpr 28
		.amdhsa_accum_offset 48
		.amdhsa_reserve_vcc 1
		.amdhsa_float_round_mode_32 0
		.amdhsa_float_round_mode_16_64 0
		.amdhsa_float_denorm_mode_32 3
		.amdhsa_float_denorm_mode_16_64 3
		.amdhsa_dx10_clamp 1
		.amdhsa_ieee_mode 1
		.amdhsa_fp16_overflow 0
		.amdhsa_tg_split 0
		.amdhsa_exception_fp_ieee_invalid_op 0
		.amdhsa_exception_fp_denorm_src 0
		.amdhsa_exception_fp_ieee_div_zero 0
		.amdhsa_exception_fp_ieee_overflow 0
		.amdhsa_exception_fp_ieee_underflow 0
		.amdhsa_exception_fp_ieee_inexact 0
		.amdhsa_exception_int_div_zero 0
	.end_amdhsa_kernel
	.text
.Lfunc_end0:
	.size	fft_rtc_fwd_len1344_factors_2_2_2_2_2_2_3_7_wgs_224_tpt_224_halfLds_half_op_CI_CI_unitstride_sbrr_R2C_dirReg, .Lfunc_end0-fft_rtc_fwd_len1344_factors_2_2_2_2_2_2_3_7_wgs_224_tpt_224_halfLds_half_op_CI_CI_unitstride_sbrr_R2C_dirReg
                                        ; -- End function
	.section	.AMDGPU.csdata,"",@progbits
; Kernel info:
; codeLenInByte = 5888
; NumSgprs: 34
; NumVgprs: 45
; NumAgprs: 0
; TotalNumVgprs: 45
; ScratchSize: 0
; MemoryBound: 0
; FloatMode: 240
; IeeeMode: 1
; LDSByteSize: 0 bytes/workgroup (compile time only)
; SGPRBlocks: 4
; VGPRBlocks: 5
; NumSGPRsForWavesPerEU: 34
; NumVGPRsForWavesPerEU: 45
; AccumOffset: 48
; Occupancy: 8
; WaveLimiterHint : 1
; COMPUTE_PGM_RSRC2:SCRATCH_EN: 0
; COMPUTE_PGM_RSRC2:USER_SGPR: 2
; COMPUTE_PGM_RSRC2:TRAP_HANDLER: 0
; COMPUTE_PGM_RSRC2:TGID_X_EN: 1
; COMPUTE_PGM_RSRC2:TGID_Y_EN: 0
; COMPUTE_PGM_RSRC2:TGID_Z_EN: 0
; COMPUTE_PGM_RSRC2:TIDIG_COMP_CNT: 0
; COMPUTE_PGM_RSRC3_GFX90A:ACCUM_OFFSET: 11
; COMPUTE_PGM_RSRC3_GFX90A:TG_SPLIT: 0
	.text
	.p2alignl 6, 3212836864
	.fill 256, 4, 3212836864
	.type	__hip_cuid_f0733ef6a46367d0,@object ; @__hip_cuid_f0733ef6a46367d0
	.section	.bss,"aw",@nobits
	.globl	__hip_cuid_f0733ef6a46367d0
__hip_cuid_f0733ef6a46367d0:
	.byte	0                               ; 0x0
	.size	__hip_cuid_f0733ef6a46367d0, 1

	.ident	"AMD clang version 19.0.0git (https://github.com/RadeonOpenCompute/llvm-project roc-6.4.0 25133 c7fe45cf4b819c5991fe208aaa96edf142730f1d)"
	.section	".note.GNU-stack","",@progbits
	.addrsig
	.addrsig_sym __hip_cuid_f0733ef6a46367d0
	.amdgpu_metadata
---
amdhsa.kernels:
  - .agpr_count:     0
    .args:
      - .actual_access:  read_only
        .address_space:  global
        .offset:         0
        .size:           8
        .value_kind:     global_buffer
      - .offset:         8
        .size:           8
        .value_kind:     by_value
      - .actual_access:  read_only
        .address_space:  global
        .offset:         16
        .size:           8
        .value_kind:     global_buffer
      - .actual_access:  read_only
        .address_space:  global
        .offset:         24
        .size:           8
        .value_kind:     global_buffer
      - .actual_access:  read_only
        .address_space:  global
        .offset:         32
        .size:           8
        .value_kind:     global_buffer
      - .offset:         40
        .size:           8
        .value_kind:     by_value
      - .actual_access:  read_only
        .address_space:  global
        .offset:         48
        .size:           8
        .value_kind:     global_buffer
      - .actual_access:  read_only
        .address_space:  global
        .offset:         56
        .size:           8
        .value_kind:     global_buffer
      - .offset:         64
        .size:           4
        .value_kind:     by_value
      - .actual_access:  read_only
        .address_space:  global
        .offset:         72
        .size:           8
        .value_kind:     global_buffer
      - .actual_access:  read_only
        .address_space:  global
        .offset:         80
        .size:           8
        .value_kind:     global_buffer
      - .actual_access:  read_only
        .address_space:  global
        .offset:         88
        .size:           8
        .value_kind:     global_buffer
      - .actual_access:  write_only
        .address_space:  global
        .offset:         96
        .size:           8
        .value_kind:     global_buffer
    .group_segment_fixed_size: 0
    .kernarg_segment_align: 8
    .kernarg_segment_size: 104
    .language:       OpenCL C
    .language_version:
      - 2
      - 0
    .max_flat_workgroup_size: 224
    .name:           fft_rtc_fwd_len1344_factors_2_2_2_2_2_2_3_7_wgs_224_tpt_224_halfLds_half_op_CI_CI_unitstride_sbrr_R2C_dirReg
    .private_segment_fixed_size: 0
    .sgpr_count:     34
    .sgpr_spill_count: 0
    .symbol:         fft_rtc_fwd_len1344_factors_2_2_2_2_2_2_3_7_wgs_224_tpt_224_halfLds_half_op_CI_CI_unitstride_sbrr_R2C_dirReg.kd
    .uniform_work_group_size: 1
    .uses_dynamic_stack: false
    .vgpr_count:     45
    .vgpr_spill_count: 0
    .wavefront_size: 64
amdhsa.target:   amdgcn-amd-amdhsa--gfx950
amdhsa.version:
  - 1
  - 2
...

	.end_amdgpu_metadata
